;; amdgpu-corpus repo=ROCm/rocFFT kind=compiled arch=gfx1030 opt=O3
	.text
	.amdgcn_target "amdgcn-amd-amdhsa--gfx1030"
	.amdhsa_code_object_version 6
	.protected	fft_rtc_fwd_len1800_factors_10_6_10_3_wgs_180_tpt_180_halfLds_sp_ip_CI_sbrr_dirReg ; -- Begin function fft_rtc_fwd_len1800_factors_10_6_10_3_wgs_180_tpt_180_halfLds_sp_ip_CI_sbrr_dirReg
	.globl	fft_rtc_fwd_len1800_factors_10_6_10_3_wgs_180_tpt_180_halfLds_sp_ip_CI_sbrr_dirReg
	.p2align	8
	.type	fft_rtc_fwd_len1800_factors_10_6_10_3_wgs_180_tpt_180_halfLds_sp_ip_CI_sbrr_dirReg,@function
fft_rtc_fwd_len1800_factors_10_6_10_3_wgs_180_tpt_180_halfLds_sp_ip_CI_sbrr_dirReg: ; @fft_rtc_fwd_len1800_factors_10_6_10_3_wgs_180_tpt_180_halfLds_sp_ip_CI_sbrr_dirReg
; %bb.0:
	s_clause 0x2
	s_load_dwordx2 s[14:15], s[4:5], 0x18
	s_load_dwordx4 s[8:11], s[4:5], 0x0
	s_load_dwordx2 s[12:13], s[4:5], 0x50
	v_mul_u32_u24_e32 v1, 0x16d, v0
	v_mov_b32_e32 v3, 0
	v_add_nc_u32_sdwa v5, s6, v1 dst_sel:DWORD dst_unused:UNUSED_PAD src0_sel:DWORD src1_sel:WORD_1
	v_mov_b32_e32 v1, 0
	v_mov_b32_e32 v6, v3
	v_mov_b32_e32 v2, 0
	s_waitcnt lgkmcnt(0)
	s_load_dwordx2 s[2:3], s[14:15], 0x0
	v_cmp_lt_u64_e64 s0, s[10:11], 2
	s_and_b32 vcc_lo, exec_lo, s0
	s_cbranch_vccnz .LBB0_8
; %bb.1:
	s_load_dwordx2 s[0:1], s[4:5], 0x10
	v_mov_b32_e32 v1, 0
	s_add_u32 s6, s14, 8
	v_mov_b32_e32 v2, 0
	s_addc_u32 s7, s15, 0
	s_mov_b64 s[18:19], 1
	s_waitcnt lgkmcnt(0)
	s_add_u32 s16, s0, 8
	s_addc_u32 s17, s1, 0
.LBB0_2:                                ; =>This Inner Loop Header: Depth=1
	s_load_dwordx2 s[20:21], s[16:17], 0x0
                                        ; implicit-def: $vgpr7_vgpr8
	s_mov_b32 s0, exec_lo
	s_waitcnt lgkmcnt(0)
	v_or_b32_e32 v4, s21, v6
	v_cmpx_ne_u64_e32 0, v[3:4]
	s_xor_b32 s1, exec_lo, s0
	s_cbranch_execz .LBB0_4
; %bb.3:                                ;   in Loop: Header=BB0_2 Depth=1
	v_cvt_f32_u32_e32 v4, s20
	v_cvt_f32_u32_e32 v7, s21
	s_sub_u32 s0, 0, s20
	s_subb_u32 s22, 0, s21
	v_fmac_f32_e32 v4, 0x4f800000, v7
	v_rcp_f32_e32 v4, v4
	v_mul_f32_e32 v4, 0x5f7ffffc, v4
	v_mul_f32_e32 v7, 0x2f800000, v4
	v_trunc_f32_e32 v7, v7
	v_fmac_f32_e32 v4, 0xcf800000, v7
	v_cvt_u32_f32_e32 v7, v7
	v_cvt_u32_f32_e32 v4, v4
	v_mul_lo_u32 v8, s0, v7
	v_mul_hi_u32 v9, s0, v4
	v_mul_lo_u32 v10, s22, v4
	v_add_nc_u32_e32 v8, v9, v8
	v_mul_lo_u32 v9, s0, v4
	v_add_nc_u32_e32 v8, v8, v10
	v_mul_hi_u32 v10, v4, v9
	v_mul_lo_u32 v11, v4, v8
	v_mul_hi_u32 v12, v4, v8
	v_mul_hi_u32 v13, v7, v9
	v_mul_lo_u32 v9, v7, v9
	v_mul_hi_u32 v14, v7, v8
	v_mul_lo_u32 v8, v7, v8
	v_add_co_u32 v10, vcc_lo, v10, v11
	v_add_co_ci_u32_e32 v11, vcc_lo, 0, v12, vcc_lo
	v_add_co_u32 v9, vcc_lo, v10, v9
	v_add_co_ci_u32_e32 v9, vcc_lo, v11, v13, vcc_lo
	v_add_co_ci_u32_e32 v10, vcc_lo, 0, v14, vcc_lo
	v_add_co_u32 v8, vcc_lo, v9, v8
	v_add_co_ci_u32_e32 v9, vcc_lo, 0, v10, vcc_lo
	v_add_co_u32 v4, vcc_lo, v4, v8
	v_add_co_ci_u32_e32 v7, vcc_lo, v7, v9, vcc_lo
	v_mul_hi_u32 v8, s0, v4
	v_mul_lo_u32 v10, s22, v4
	v_mul_lo_u32 v9, s0, v7
	v_add_nc_u32_e32 v8, v8, v9
	v_mul_lo_u32 v9, s0, v4
	v_add_nc_u32_e32 v8, v8, v10
	v_mul_hi_u32 v10, v4, v9
	v_mul_lo_u32 v11, v4, v8
	v_mul_hi_u32 v12, v4, v8
	v_mul_hi_u32 v13, v7, v9
	v_mul_lo_u32 v9, v7, v9
	v_mul_hi_u32 v14, v7, v8
	v_mul_lo_u32 v8, v7, v8
	v_add_co_u32 v10, vcc_lo, v10, v11
	v_add_co_ci_u32_e32 v11, vcc_lo, 0, v12, vcc_lo
	v_add_co_u32 v9, vcc_lo, v10, v9
	v_add_co_ci_u32_e32 v9, vcc_lo, v11, v13, vcc_lo
	v_add_co_ci_u32_e32 v10, vcc_lo, 0, v14, vcc_lo
	v_add_co_u32 v8, vcc_lo, v9, v8
	v_add_co_ci_u32_e32 v9, vcc_lo, 0, v10, vcc_lo
	v_add_co_u32 v4, vcc_lo, v4, v8
	v_add_co_ci_u32_e32 v11, vcc_lo, v7, v9, vcc_lo
	v_mul_hi_u32 v13, v5, v4
	v_mad_u64_u32 v[9:10], null, v6, v4, 0
	v_mad_u64_u32 v[7:8], null, v5, v11, 0
	;; [unrolled: 1-line block ×3, first 2 shown]
	v_add_co_u32 v4, vcc_lo, v13, v7
	v_add_co_ci_u32_e32 v7, vcc_lo, 0, v8, vcc_lo
	v_add_co_u32 v4, vcc_lo, v4, v9
	v_add_co_ci_u32_e32 v4, vcc_lo, v7, v10, vcc_lo
	v_add_co_ci_u32_e32 v7, vcc_lo, 0, v12, vcc_lo
	v_add_co_u32 v4, vcc_lo, v4, v11
	v_add_co_ci_u32_e32 v9, vcc_lo, 0, v7, vcc_lo
	v_mul_lo_u32 v10, s21, v4
	v_mad_u64_u32 v[7:8], null, s20, v4, 0
	v_mul_lo_u32 v11, s20, v9
	v_sub_co_u32 v7, vcc_lo, v5, v7
	v_add3_u32 v8, v8, v11, v10
	v_sub_nc_u32_e32 v10, v6, v8
	v_subrev_co_ci_u32_e64 v10, s0, s21, v10, vcc_lo
	v_add_co_u32 v11, s0, v4, 2
	v_add_co_ci_u32_e64 v12, s0, 0, v9, s0
	v_sub_co_u32 v13, s0, v7, s20
	v_sub_co_ci_u32_e32 v8, vcc_lo, v6, v8, vcc_lo
	v_subrev_co_ci_u32_e64 v10, s0, 0, v10, s0
	v_cmp_le_u32_e32 vcc_lo, s20, v13
	v_cmp_eq_u32_e64 s0, s21, v8
	v_cndmask_b32_e64 v13, 0, -1, vcc_lo
	v_cmp_le_u32_e32 vcc_lo, s21, v10
	v_cndmask_b32_e64 v14, 0, -1, vcc_lo
	v_cmp_le_u32_e32 vcc_lo, s20, v7
	;; [unrolled: 2-line block ×3, first 2 shown]
	v_cndmask_b32_e64 v15, 0, -1, vcc_lo
	v_cmp_eq_u32_e32 vcc_lo, s21, v10
	v_cndmask_b32_e64 v7, v15, v7, s0
	v_cndmask_b32_e32 v10, v14, v13, vcc_lo
	v_add_co_u32 v13, vcc_lo, v4, 1
	v_add_co_ci_u32_e32 v14, vcc_lo, 0, v9, vcc_lo
	v_cmp_ne_u32_e32 vcc_lo, 0, v10
	v_cndmask_b32_e32 v8, v14, v12, vcc_lo
	v_cndmask_b32_e32 v10, v13, v11, vcc_lo
	v_cmp_ne_u32_e32 vcc_lo, 0, v7
	v_cndmask_b32_e32 v8, v9, v8, vcc_lo
	v_cndmask_b32_e32 v7, v4, v10, vcc_lo
.LBB0_4:                                ;   in Loop: Header=BB0_2 Depth=1
	s_andn2_saveexec_b32 s0, s1
	s_cbranch_execz .LBB0_6
; %bb.5:                                ;   in Loop: Header=BB0_2 Depth=1
	v_cvt_f32_u32_e32 v4, s20
	s_sub_i32 s1, 0, s20
	v_rcp_iflag_f32_e32 v4, v4
	v_mul_f32_e32 v4, 0x4f7ffffe, v4
	v_cvt_u32_f32_e32 v4, v4
	v_mul_lo_u32 v7, s1, v4
	v_mul_hi_u32 v7, v4, v7
	v_add_nc_u32_e32 v4, v4, v7
	v_mul_hi_u32 v4, v5, v4
	v_mul_lo_u32 v7, v4, s20
	v_add_nc_u32_e32 v8, 1, v4
	v_sub_nc_u32_e32 v7, v5, v7
	v_subrev_nc_u32_e32 v9, s20, v7
	v_cmp_le_u32_e32 vcc_lo, s20, v7
	v_cndmask_b32_e32 v7, v7, v9, vcc_lo
	v_cndmask_b32_e32 v4, v4, v8, vcc_lo
	v_cmp_le_u32_e32 vcc_lo, s20, v7
	v_add_nc_u32_e32 v8, 1, v4
	v_cndmask_b32_e32 v7, v4, v8, vcc_lo
	v_mov_b32_e32 v8, v3
.LBB0_6:                                ;   in Loop: Header=BB0_2 Depth=1
	s_or_b32 exec_lo, exec_lo, s0
	s_load_dwordx2 s[0:1], s[6:7], 0x0
	v_mul_lo_u32 v4, v8, s20
	v_mul_lo_u32 v11, v7, s21
	v_mad_u64_u32 v[9:10], null, v7, s20, 0
	s_add_u32 s18, s18, 1
	s_addc_u32 s19, s19, 0
	s_add_u32 s6, s6, 8
	s_addc_u32 s7, s7, 0
	;; [unrolled: 2-line block ×3, first 2 shown]
	v_add3_u32 v4, v10, v11, v4
	v_sub_co_u32 v5, vcc_lo, v5, v9
	v_sub_co_ci_u32_e32 v4, vcc_lo, v6, v4, vcc_lo
	s_waitcnt lgkmcnt(0)
	v_mul_lo_u32 v6, s1, v5
	v_mul_lo_u32 v4, s0, v4
	v_mad_u64_u32 v[1:2], null, s0, v5, v[1:2]
	v_cmp_ge_u64_e64 s0, s[18:19], s[10:11]
	s_and_b32 vcc_lo, exec_lo, s0
	v_add3_u32 v2, v6, v2, v4
	s_cbranch_vccnz .LBB0_9
; %bb.7:                                ;   in Loop: Header=BB0_2 Depth=1
	v_mov_b32_e32 v5, v7
	v_mov_b32_e32 v6, v8
	s_branch .LBB0_2
.LBB0_8:
	v_mov_b32_e32 v8, v6
	v_mov_b32_e32 v7, v5
.LBB0_9:
	s_lshl_b64 s[0:1], s[10:11], 3
	v_mul_hi_u32 v3, 0x16c16c2, v0
	s_add_u32 s0, s14, s0
	s_addc_u32 s1, s15, s1
                                        ; implicit-def: $vgpr28
	s_load_dwordx2 s[0:1], s[0:1], 0x0
	s_load_dwordx2 s[4:5], s[4:5], 0x20
	v_mul_u32_u24_e32 v3, 0xb4, v3
	v_sub_nc_u32_e32 v25, v0, v3
	v_add_nc_u32_e32 v26, 0xb4, v25
	s_waitcnt lgkmcnt(0)
	v_mul_lo_u32 v4, s0, v8
	v_mul_lo_u32 v5, s1, v7
	v_mad_u64_u32 v[1:2], null, s0, v7, v[1:2]
	v_cmp_gt_u64_e32 vcc_lo, s[4:5], v[7:8]
	v_cmp_le_u64_e64 s0, s[4:5], v[7:8]
	v_add3_u32 v2, v5, v2, v4
	s_and_saveexec_b32 s1, s0
	s_xor_b32 s0, exec_lo, s1
; %bb.10:
	v_add_nc_u32_e32 v28, 0xb4, v25
; %bb.11:
	s_or_saveexec_b32 s1, s0
	v_lshlrev_b64 v[0:1], 3, v[1:2]
	v_add_nc_u32_e32 v27, 0x168, v25
                                        ; implicit-def: $vgpr14
                                        ; implicit-def: $vgpr22
                                        ; implicit-def: $vgpr16
                                        ; implicit-def: $vgpr20
                                        ; implicit-def: $vgpr18
                                        ; implicit-def: $vgpr24
                                        ; implicit-def: $vgpr9
                                        ; implicit-def: $vgpr11
                                        ; implicit-def: $vgpr7
                                        ; implicit-def: $vgpr3
	s_xor_b32 exec_lo, exec_lo, s1
	s_cbranch_execz .LBB0_13
; %bb.12:
	v_mad_u64_u32 v[2:3], null, s2, v25, 0
	v_mad_u64_u32 v[4:5], null, s2, v26, 0
	;; [unrolled: 1-line block ×3, first 2 shown]
	v_add_nc_u32_e32 v13, 0x21c, v25
	v_add_nc_u32_e32 v14, 0x2d0, v25
	v_add_co_u32 v30, s0, s12, v0
	v_mad_u64_u32 v[8:9], null, s3, v25, v[3:4]
	v_mad_u64_u32 v[9:10], null, s3, v26, v[5:6]
	;; [unrolled: 1-line block ×3, first 2 shown]
	v_add_nc_u32_e32 v20, 0x384, v25
	v_add_co_ci_u32_e64 v31, s0, s13, v1, s0
	v_mov_b32_e32 v3, v8
	v_mov_b32_e32 v5, v9
	v_add_nc_u32_e32 v23, 0x438, v25
	v_mov_b32_e32 v8, v11
	v_add_nc_u32_e32 v24, 0x4ec, v25
	v_lshlrev_b64 v[2:3], 3, v[2:3]
	v_lshlrev_b64 v[4:5], 3, v[4:5]
	v_mad_u64_u32 v[18:19], null, s2, v23, 0
	v_mad_u64_u32 v[11:12], null, s3, v27, v[7:8]
	;; [unrolled: 1-line block ×4, first 2 shown]
	v_add_co_u32 v2, s0, v30, v2
	v_mov_b32_e32 v7, v11
	v_add_co_ci_u32_e64 v3, s0, v31, v3, s0
	v_mov_b32_e32 v11, v8
	v_mov_b32_e32 v8, v13
	v_lshlrev_b64 v[6:7], 3, v[6:7]
	v_add_co_u32 v4, s0, v30, v4
	v_lshlrev_b64 v[9:10], 3, v[10:11]
	v_add_co_ci_u32_e64 v5, s0, v31, v5, s0
	v_add_co_u32 v16, s0, v30, v6
	v_add_co_ci_u32_e64 v17, s0, v31, v7, s0
	v_mad_u64_u32 v[13:14], null, s3, v14, v[8:9]
	v_mad_u64_u32 v[14:15], null, s2, v20, 0
	v_add_co_u32 v8, s0, v30, v9
	v_add_co_ci_u32_e64 v9, s0, v31, v10, s0
	v_add_nc_u32_e32 v28, 0x654, v25
	v_lshlrev_b64 v[12:13], 3, v[12:13]
	v_mov_b32_e32 v6, v15
	v_mad_u64_u32 v[20:21], null, s3, v20, v[6:7]
	s_clause 0x3
	global_load_dwordx2 v[2:3], v[2:3], off
	global_load_dwordx2 v[6:7], v[4:5], off
	;; [unrolled: 1-line block ×4, first 2 shown]
	v_mad_u64_u32 v[21:22], null, s2, v24, 0
	v_mov_b32_e32 v4, v19
	v_add_co_u32 v12, s0, v30, v12
	v_mov_b32_e32 v15, v20
	v_add_nc_u32_e32 v20, 0x5a0, v25
	v_mad_u64_u32 v[4:5], null, s3, v23, v[4:5]
	v_mov_b32_e32 v5, v22
	v_lshlrev_b64 v[14:15], 3, v[14:15]
	v_mad_u64_u32 v[16:17], null, s2, v20, 0
	v_add_co_ci_u32_e64 v13, s0, v31, v13, s0
	v_mov_b32_e32 v19, v4
	v_add_co_u32 v14, s0, v30, v14
	v_add_co_ci_u32_e64 v15, s0, v31, v15, s0
	v_lshlrev_b64 v[18:19], 3, v[18:19]
	s_waitcnt vmcnt(2)
	v_mad_u64_u32 v[22:23], null, s3, v24, v[5:6]
	v_mad_u64_u32 v[23:24], null, s2, v28, 0
	v_mov_b32_e32 v5, v17
	v_mad_u64_u32 v[4:5], null, s3, v20, v[5:6]
	v_mov_b32_e32 v5, v24
	v_lshlrev_b64 v[20:21], 3, v[21:22]
	v_mad_u64_u32 v[28:29], null, s3, v28, v[5:6]
	v_mov_b32_e32 v17, v4
	v_add_co_u32 v4, s0, v30, v18
	v_add_co_ci_u32_e64 v5, s0, v31, v19, s0
	v_lshlrev_b64 v[16:17], 3, v[16:17]
	v_mov_b32_e32 v24, v28
	v_add_co_u32 v28, s0, v30, v20
	v_add_co_ci_u32_e64 v29, s0, v31, v21, s0
	v_lshlrev_b64 v[18:19], 3, v[23:24]
	v_add_co_u32 v21, s0, v30, v16
	v_add_co_ci_u32_e64 v22, s0, v31, v17, s0
	v_add_co_u32 v30, s0, v30, v18
	v_add_co_ci_u32_e64 v31, s0, v31, v19, s0
	s_clause 0x5
	global_load_dwordx2 v[23:24], v[12:13], off
	global_load_dwordx2 v[17:18], v[14:15], off
	;; [unrolled: 1-line block ×6, first 2 shown]
	v_mov_b32_e32 v28, v26
.LBB0_13:
	s_or_b32 exec_lo, exec_lo, s1
	s_waitcnt vmcnt(3)
	v_add_f32_e32 v4, v19, v23
	s_waitcnt vmcnt(1)
	v_sub_f32_e32 v12, v11, v22
	v_sub_f32_e32 v29, v24, v20
	;; [unrolled: 1-line block ×3, first 2 shown]
	v_add_f32_e32 v31, v21, v10
	v_fma_f32 v35, -0.5, v4, v2
	v_sub_f32_e32 v4, v10, v23
	v_add_f32_e32 v5, v10, v2
	v_add_f32_e32 v32, v8, v6
	v_fmac_f32_e32 v2, -0.5, v31
	v_fmamk_f32 v36, v12, 0x3f737871, v35
	v_fmac_f32_e32 v35, 0xbf737871, v12
	v_add_f32_e32 v4, v30, v4
	v_sub_f32_e32 v31, v19, v21
	v_fmamk_f32 v44, v29, 0xbf737871, v2
	v_fmac_f32_e32 v36, 0x3f167918, v29
	v_fmac_f32_e32 v35, 0xbf167918, v29
	;; [unrolled: 1-line block ×3, first 2 shown]
	v_add_f32_e32 v29, v17, v32
	v_add_f32_e32 v30, v15, v17
	v_fmac_f32_e32 v36, 0x3e9e377a, v4
	v_fmac_f32_e32 v35, 0x3e9e377a, v4
	v_sub_f32_e32 v4, v23, v10
	v_fmac_f32_e32 v44, 0x3f167918, v12
	v_sub_f32_e32 v32, v8, v17
	s_waitcnt vmcnt(0)
	v_sub_f32_e32 v33, v13, v15
	v_fmac_f32_e32 v2, 0xbf167918, v12
	v_add_f32_e32 v4, v31, v4
	v_add_f32_e32 v12, v15, v29
	;; [unrolled: 1-line block ×3, first 2 shown]
	v_fma_f32 v37, -0.5, v30, v6
	v_sub_f32_e32 v30, v9, v14
	v_sub_f32_e32 v31, v18, v16
	v_add_f32_e32 v32, v33, v32
	v_fmac_f32_e32 v44, 0x3e9e377a, v4
	v_fmac_f32_e32 v2, 0x3e9e377a, v4
	v_fmac_f32_e32 v6, -0.5, v29
	v_add_f32_e32 v4, v13, v12
	v_add_f32_e32 v12, v16, v18
	v_sub_f32_e32 v29, v17, v8
	v_sub_f32_e32 v33, v15, v13
	;; [unrolled: 1-line block ×3, first 2 shown]
	v_add_f32_e32 v13, v14, v9
	v_fmamk_f32 v38, v30, 0x3f737871, v37
	v_fmac_f32_e32 v37, 0xbf737871, v30
	v_fmamk_f32 v40, v31, 0xbf737871, v6
	v_fma_f32 v39, -0.5, v12, v7
	v_fmac_f32_e32 v6, 0x3f737871, v31
	v_sub_f32_e32 v17, v17, v15
	v_fma_f32 v42, -0.5, v13, v7
	v_fmac_f32_e32 v38, 0x3f167918, v31
	v_fmac_f32_e32 v37, 0xbf167918, v31
	;; [unrolled: 1-line block ×3, first 2 shown]
	v_add_f32_e32 v12, v33, v29
	v_fmamk_f32 v41, v8, 0xbf737871, v39
	v_fmac_f32_e32 v6, 0xbf167918, v30
	v_sub_f32_e32 v13, v9, v18
	v_sub_f32_e32 v29, v14, v16
	v_fmac_f32_e32 v39, 0x3f737871, v8
	v_fmamk_f32 v15, v17, 0x3f737871, v42
	v_sub_f32_e32 v30, v18, v9
	v_sub_f32_e32 v31, v16, v14
	v_fmac_f32_e32 v42, 0xbf737871, v17
	v_add_f32_e32 v5, v23, v5
	v_fmac_f32_e32 v38, 0x3e9e377a, v32
	v_fmac_f32_e32 v37, 0x3e9e377a, v32
	v_fmac_f32_e32 v40, 0x3e9e377a, v12
	v_fmac_f32_e32 v41, 0xbf167918, v17
	v_add_f32_e32 v13, v29, v13
	v_fmac_f32_e32 v39, 0x3f167918, v17
	v_fmac_f32_e32 v15, 0xbf167918, v8
	v_add_f32_e32 v17, v31, v30
	v_fmac_f32_e32 v6, 0x3e9e377a, v12
	v_fmac_f32_e32 v42, 0x3f167918, v8
	v_add_f32_e32 v5, v19, v5
	v_fmac_f32_e32 v41, 0x3e9e377a, v13
	v_fmac_f32_e32 v39, 0x3e9e377a, v13
	v_fmac_f32_e32 v15, 0x3e9e377a, v17
	v_mul_f32_e32 v8, 0x3f4f1bbd, v38
	v_mul_f32_e32 v12, 0x3e9e377a, v40
	v_fmac_f32_e32 v42, 0x3e9e377a, v17
	v_mul_f32_e32 v13, 0x3e9e377a, v6
	v_mul_f32_e32 v17, 0x3f4f1bbd, v37
	v_mul_u32_u24_e32 v43, 10, v25
	v_add_f32_e32 v5, v21, v5
	v_fmac_f32_e32 v8, 0x3f167918, v41
	v_fmac_f32_e32 v12, 0x3f737871, v15
	v_fma_f32 v13, 0x3f737871, v42, -v13
	v_fma_f32 v17, 0x3f167918, v39, -v17
	v_lshl_add_u32 v43, v43, 2, 0
	v_add_f32_e32 v29, v4, v5
	v_add_f32_e32 v30, v36, v8
	;; [unrolled: 1-line block ×4, first 2 shown]
	v_sub_f32_e32 v34, v5, v4
	v_sub_f32_e32 v5, v44, v12
	;; [unrolled: 1-line block ×4, first 2 shown]
	v_mad_i32_i24 v2, 0xffffffdc, v25, v43
	v_add_f32_e32 v33, v35, v17
	v_sub_f32_e32 v4, v36, v8
	ds_write2_b64 v43, v[29:30], v[31:32] offset1:1
	ds_write2_b64 v43, v[33:34], v[4:5] offset0:2 offset1:3
	ds_write_b64 v43, v[12:13] offset:32
	s_waitcnt lgkmcnt(0)
	s_barrier
	buffer_gl0_inv
	ds_read_b32 v8, v2
	ds_read_b32 v36, v2 offset:1200
	ds_read_b32 v35, v2 offset:2400
	;; [unrolled: 1-line block ×5, first 2 shown]
	v_mul_i32_i24_e32 v2, 0xffffffdc, v25
	v_cmp_gt_u32_e64 s0, 0x78, v25
	v_lshl_add_u32 v17, v28, 2, 0
                                        ; implicit-def: $vgpr32
                                        ; implicit-def: $vgpr33
	v_add_nc_u32_e32 v29, v43, v2
	s_and_saveexec_b32 s1, s0
	s_cbranch_execz .LBB0_15
; %bb.14:
	ds_read_b32 v5, v29 offset:1920
	ds_read_b32 v12, v29 offset:3120
	;; [unrolled: 1-line block ×4, first 2 shown]
	ds_read_b32 v4, v17
	ds_read_b32 v32, v29 offset:6720
.LBB0_15:
	s_or_b32 exec_lo, exec_lo, s1
	v_add_f32_e32 v2, v11, v3
	v_add_f32_e32 v44, v20, v24
	;; [unrolled: 1-line block ×3, first 2 shown]
	v_sub_f32_e32 v19, v23, v19
	v_sub_f32_e32 v10, v10, v21
	v_add_f32_e32 v2, v24, v2
	v_fma_f32 v44, -0.5, v44, v3
	v_fmac_f32_e32 v3, -0.5, v45
	v_sub_f32_e32 v21, v11, v24
	v_sub_f32_e32 v46, v22, v20
	v_add_f32_e32 v2, v20, v2
	v_sub_f32_e32 v11, v24, v11
	v_fmamk_f32 v45, v19, 0x3f737871, v3
	v_sub_f32_e32 v20, v20, v22
	v_fmac_f32_e32 v3, 0xbf737871, v19
	v_add_f32_e32 v7, v9, v7
	v_fmamk_f32 v23, v10, 0xbf737871, v44
	v_fmac_f32_e32 v45, 0xbf167918, v10
	v_add_f32_e32 v9, v20, v11
	v_fmac_f32_e32 v3, 0x3f167918, v10
	v_add_f32_e32 v7, v18, v7
	;; [unrolled: 2-line block ×3, first 2 shown]
	v_fmac_f32_e32 v23, 0xbf167918, v19
	v_fmac_f32_e32 v45, 0x3e9e377a, v9
	;; [unrolled: 1-line block ×3, first 2 shown]
	v_add_f32_e32 v7, v16, v7
	v_mul_f32_e32 v11, 0xbf167918, v38
	v_mul_f32_e32 v16, 0xbf737871, v40
	;; [unrolled: 1-line block ×3, first 2 shown]
	v_fmac_f32_e32 v44, 0x3f167918, v19
	v_mul_f32_e32 v10, 0x3f4f1bbd, v39
	v_add_f32_e32 v2, v22, v2
	v_fmac_f32_e32 v23, 0x3e9e377a, v21
	v_add_f32_e32 v7, v14, v7
	v_fmac_f32_e32 v11, 0x3f4f1bbd, v41
	v_fmac_f32_e32 v16, 0x3e9e377a, v15
	v_fma_f32 v20, 0xbf737871, v6, -v9
	v_fmac_f32_e32 v44, 0x3e9e377a, v21
	v_fma_f32 v21, 0xbf167918, v37, -v10
	v_add_f32_e32 v9, v7, v2
	v_add_f32_e32 v10, v23, v11
	;; [unrolled: 1-line block ×5, first 2 shown]
	v_sub_f32_e32 v19, v2, v7
	v_sub_f32_e32 v6, v23, v11
	;; [unrolled: 1-line block ×5, first 2 shown]
	s_waitcnt lgkmcnt(0)
	s_barrier
	buffer_gl0_inv
	ds_write2_b64 v43, v[9:10], v[14:15] offset1:1
	ds_write2_b64 v43, v[18:19], v[6:7] offset0:2 offset1:3
	ds_write_b64 v43, v[2:3] offset:32
	s_waitcnt lgkmcnt(0)
	s_barrier
	buffer_gl0_inv
	ds_read_b32 v15, v29
	ds_read_b32 v21, v29 offset:1200
	ds_read_b32 v20, v29 offset:2400
	ds_read_b32 v19, v29 offset:3600
	ds_read_b32 v18, v29 offset:4800
	ds_read_b32 v11, v29 offset:6000
                                        ; implicit-def: $vgpr9
                                        ; implicit-def: $vgpr10
	s_and_saveexec_b32 s1, s0
	s_cbranch_execz .LBB0_17
; %bb.16:
	ds_read_b32 v7, v29 offset:1920
	ds_read_b32 v2, v29 offset:3120
	;; [unrolled: 1-line block ×4, first 2 shown]
	ds_read_b32 v6, v17
	ds_read_b32 v9, v29 offset:6720
.LBB0_17:
	s_or_b32 exec_lo, exec_lo, s1
	v_and_b32_e32 v14, 0xff, v25
	v_mov_b32_e32 v24, 5
	v_mov_b32_e32 v44, 2
	v_mul_lo_u16 v16, 0xcd, v14
	v_lshrrev_b16 v22, 11, v16
	v_mov_b32_e32 v16, 0xcccd
	v_mul_lo_u16 v23, v22, 10
	v_mul_u32_u24_sdwa v16, v28, v16 dst_sel:DWORD dst_unused:UNUSED_PAD src0_sel:WORD_0 src1_sel:DWORD
	v_sub_nc_u16 v23, v25, v23
	v_lshrrev_b32_e32 v37, 19, v16
	v_mul_u32_u24_sdwa v16, v23, v24 dst_sel:DWORD dst_unused:UNUSED_PAD src0_sel:BYTE_0 src1_sel:DWORD
	v_mul_lo_u16 v38, v37, 10
	v_lshlrev_b32_sdwa v23, v44, v23 dst_sel:DWORD dst_unused:UNUSED_PAD src0_sel:DWORD src1_sel:BYTE_0
	v_mul_lo_u16 v37, v37, 60
	v_lshlrev_b32_e32 v39, 3, v16
	v_sub_nc_u16 v16, v28, v38
	s_clause 0x1
	global_load_dwordx4 v[45:48], v39, s[8:9]
	global_load_dwordx4 v[49:52], v39, s[8:9] offset:16
	v_mul_u32_u24_sdwa v24, v16, v24 dst_sel:DWORD dst_unused:UNUSED_PAD src0_sel:WORD_0 src1_sel:DWORD
	v_lshlrev_b32_e32 v24, 3, v24
	s_clause 0x3
	global_load_dwordx2 v[61:62], v39, s[8:9] offset:32
	global_load_dwordx4 v[53:56], v24, s[8:9]
	global_load_dwordx4 v[57:60], v24, s[8:9] offset:16
	global_load_dwordx2 v[63:64], v24, s[8:9] offset:32
	v_mov_b32_e32 v24, 0xf0
	s_waitcnt vmcnt(0) lgkmcnt(0)
	s_barrier
	buffer_gl0_inv
	v_mul_u32_u24_sdwa v22, v22, v24 dst_sel:DWORD dst_unused:UNUSED_PAD src0_sel:WORD_0 src1_sel:DWORD
	v_add3_u32 v38, 0, v22, v23
	v_mul_f32_e32 v22, v21, v46
	v_mul_f32_e32 v23, v36, v46
	v_mul_f32_e32 v39, v20, v48
	v_mul_f32_e32 v43, v35, v48
	v_mul_f32_e32 v46, v19, v50
	v_mul_f32_e32 v42, v34, v50
	v_mul_f32_e32 v48, v18, v52
	v_mul_f32_e32 v24, v31, v52
	v_mul_f32_e32 v41, v30, v62
	v_fma_f32 v22, v36, v45, -v22
	v_mul_f32_e32 v52, v7, v54
	v_fmac_f32_e32 v23, v21, v45
	v_mul_f32_e32 v36, v5, v54
	v_fma_f32 v45, v35, v47, -v39
	v_mul_f32_e32 v21, v2, v56
	v_fmac_f32_e32 v43, v20, v47
	v_mul_f32_e32 v39, v12, v56
	v_mul_f32_e32 v20, v3, v58
	;; [unrolled: 1-line block ×5, first 2 shown]
	v_fma_f32 v54, v34, v49, -v46
	v_mul_f32_e32 v56, v9, v64
	v_mul_f32_e32 v34, v32, v64
	;; [unrolled: 1-line block ×3, first 2 shown]
	v_fmac_f32_e32 v42, v19, v49
	v_fma_f32 v46, v31, v51, -v48
	v_fmac_f32_e32 v41, v11, v61
	v_fma_f32 v11, v5, v53, -v52
	v_fma_f32 v5, v12, v55, -v21
	v_fmac_f32_e32 v39, v2, v55
	v_fma_f32 v12, v13, v57, -v20
	v_fmac_f32_e32 v40, v3, v57
	v_fma_f32 v2, v33, v59, -v47
	v_fmac_f32_e32 v35, v10, v59
	v_fma_f32 v10, v32, v63, -v56
	v_fmac_f32_e32 v34, v9, v63
	v_fmac_f32_e32 v24, v18, v51
	v_fma_f32 v18, v30, v61, -v50
	v_fmac_f32_e32 v36, v7, v53
	v_add_f32_e32 v7, v45, v46
	v_add_f32_e32 v13, v22, v54
	v_add_f32_e32 v20, v42, v41
	v_add_f32_e32 v21, v5, v2
	v_add_f32_e32 v32, v12, v10
	v_add_f32_e32 v47, v40, v34
	v_add_f32_e32 v19, v54, v18
	v_add_f32_e32 v3, v8, v45
	v_sub_f32_e32 v31, v54, v18
	v_sub_f32_e32 v33, v40, v34
	;; [unrolled: 1-line block ×3, first 2 shown]
	v_fmac_f32_e32 v8, -0.5, v7
	v_add_f32_e32 v18, v13, v18
	v_fma_f32 v7, -0.5, v20, v23
	v_fma_f32 v13, -0.5, v21, v4
	;; [unrolled: 1-line block ×4, first 2 shown]
	v_sub_f32_e32 v9, v43, v24
	v_sub_f32_e32 v30, v42, v41
	v_fmac_f32_e32 v22, -0.5, v19
	v_add_f32_e32 v50, v3, v46
	v_fmamk_f32 v3, v31, 0xbf5db3d7, v7
	v_fmac_f32_e32 v7, 0x3f5db3d7, v31
	v_fmamk_f32 v32, v33, 0x3f5db3d7, v20
	v_fmamk_f32 v31, v49, 0xbf5db3d7, v21
	v_fmac_f32_e32 v20, 0xbf5db3d7, v33
	v_fmamk_f32 v19, v9, 0x3f5db3d7, v8
	v_fmac_f32_e32 v8, 0xbf5db3d7, v9
	;; [unrolled: 2-line block ×3, first 2 shown]
	v_sub_f32_e32 v48, v39, v35
	v_add_f32_e32 v51, v50, v18
	v_sub_f32_e32 v50, v50, v18
	v_mul_f32_e32 v18, 0x3f5db3d7, v3
	v_fmac_f32_e32 v21, 0x3f5db3d7, v49
	v_mul_f32_e32 v33, 0x3f5db3d7, v31
	v_mul_f32_e32 v47, -0.5, v20
	v_mul_f32_e32 v52, -0.5, v22
	v_fmamk_f32 v30, v48, 0x3f5db3d7, v13
	v_fmac_f32_e32 v18, 0.5, v9
	v_fmac_f32_e32 v13, 0xbf5db3d7, v48
	v_fmac_f32_e32 v33, 0.5, v32
	v_fmac_f32_e32 v47, 0x3f5db3d7, v21
	v_fmac_f32_e32 v52, 0x3f5db3d7, v7
	v_add_f32_e32 v48, v19, v18
	v_sub_f32_e32 v53, v19, v18
	v_sub_f32_e32 v19, v30, v33
	;; [unrolled: 1-line block ×3, first 2 shown]
	v_add_f32_e32 v49, v8, v52
	v_sub_f32_e32 v8, v8, v52
	ds_write2_b32 v38, v51, v48 offset1:10
	ds_write2_b32 v38, v49, v50 offset0:20 offset1:30
	ds_write2_b32 v38, v53, v8 offset0:40 offset1:50
	s_and_saveexec_b32 s1, s0
	s_cbranch_execz .LBB0_19
; %bb.18:
	v_add_f32_e32 v4, v4, v5
	v_add_f32_e32 v8, v11, v12
	v_lshlrev_b32_sdwa v11, v44, v16 dst_sel:DWORD dst_unused:UNUSED_PAD src0_sel:DWORD src1_sel:WORD_0
	v_lshlrev_b32_sdwa v12, v44, v37 dst_sel:DWORD dst_unused:UNUSED_PAD src0_sel:DWORD src1_sel:WORD_0
	v_add_f32_e32 v4, v4, v2
	v_add_f32_e32 v8, v8, v10
	;; [unrolled: 1-line block ×4, first 2 shown]
	v_add3_u32 v11, 0, v11, v12
	v_add_f32_e32 v12, v4, v8
	v_sub_f32_e32 v4, v4, v8
	ds_write2_b32 v11, v12, v13 offset1:10
	ds_write2_b32 v11, v10, v4 offset0:20 offset1:30
	ds_write2_b32 v11, v19, v18 offset0:40 offset1:50
.LBB0_19:
	s_or_b32 exec_lo, exec_lo, s1
	v_add_f32_e32 v4, v43, v24
	v_add_f32_e32 v8, v15, v43
	v_sub_f32_e32 v11, v45, v46
	v_mul_f32_e32 v46, -0.5, v7
	v_add_f32_e32 v10, v23, v42
	v_fmac_f32_e32 v15, -0.5, v4
	v_mul_f32_e32 v43, 0xbf5db3d7, v9
	v_add_f32_e32 v4, v39, v35
	v_add_nc_u32_e32 v23, 0xb00, v29
	v_fmac_f32_e32 v46, 0xbf5db3d7, v22
	v_fmamk_f32 v47, v11, 0xbf5db3d7, v15
	v_fmac_f32_e32 v15, 0x3f5db3d7, v11
	v_lshl_add_u32 v11, v25, 2, 0
	v_add_nc_u32_e32 v22, 0x1000, v29
	v_add_f32_e32 v44, v8, v24
	v_add_f32_e32 v45, v10, v41
	v_fmac_f32_e32 v43, 0.5, v3
	v_add_nc_u32_e32 v30, 0x500, v11
	v_fma_f32 v33, -0.5, v4, v6
	v_sub_f32_e32 v49, v5, v2
	s_waitcnt lgkmcnt(0)
	s_barrier
	buffer_gl0_inv
	v_add_nc_u32_e32 v24, 0x1600, v29
	ds_read_b32 v12, v29
	ds_read_b32 v13, v17
	ds_read2_b32 v[9:10], v30 offset0:40 offset1:220
	ds_read2_b32 v[7:8], v23 offset0:16 offset1:196
	;; [unrolled: 1-line block ×4, first 2 shown]
	v_mul_f32_e32 v32, 0xbf5db3d7, v32
	v_mul_f32_e32 v41, -0.5, v21
	v_fmamk_f32 v42, v49, 0xbf5db3d7, v33
	v_fmac_f32_e32 v33, 0x3f5db3d7, v49
	v_add_f32_e32 v48, v44, v45
	v_fmac_f32_e32 v32, 0.5, v31
	v_fmac_f32_e32 v41, 0xbf5db3d7, v20
	v_add_f32_e32 v50, v47, v43
	v_add_f32_e32 v51, v15, v46
	v_sub_f32_e32 v31, v44, v45
	v_sub_f32_e32 v21, v42, v32
	;; [unrolled: 1-line block ×5, first 2 shown]
	s_waitcnt lgkmcnt(0)
	s_barrier
	buffer_gl0_inv
	ds_write2_b32 v38, v48, v50 offset1:10
	ds_write2_b32 v38, v51, v31 offset0:20 offset1:30
	ds_write2_b32 v38, v43, v15 offset0:40 offset1:50
	s_and_saveexec_b32 s1, s0
	s_cbranch_execz .LBB0_21
; %bb.20:
	v_add_f32_e32 v6, v6, v39
	v_add_f32_e32 v15, v36, v40
	v_mov_b32_e32 v31, 2
	v_add_f32_e32 v32, v42, v32
	v_add_f32_e32 v33, v33, v41
	v_add_f32_e32 v6, v6, v35
	v_add_f32_e32 v15, v15, v34
	v_lshlrev_b32_sdwa v16, v31, v16 dst_sel:DWORD dst_unused:UNUSED_PAD src0_sel:DWORD src1_sel:WORD_0
	v_lshlrev_b32_sdwa v31, v31, v37 dst_sel:DWORD dst_unused:UNUSED_PAD src0_sel:DWORD src1_sel:WORD_0
	v_add_f32_e32 v34, v6, v15
	v_sub_f32_e32 v6, v6, v15
	v_add3_u32 v16, 0, v16, v31
	ds_write2_b32 v16, v34, v32 offset1:10
	ds_write2_b32 v16, v33, v6 offset0:20 offset1:30
	ds_write2_b32 v16, v21, v20 offset0:40 offset1:50
.LBB0_21:
	s_or_b32 exec_lo, exec_lo, s1
	v_mul_lo_u16 v6, 0x89, v14
	v_mov_b32_e32 v15, 9
	s_waitcnt lgkmcnt(0)
	s_barrier
	buffer_gl0_inv
	v_lshrrev_b16 v6, 13, v6
	v_cmp_gt_u32_e64 s0, 60, v25
	v_mul_lo_u16 v14, v6, 60
	v_sub_nc_u16 v16, v25, v14
	v_mul_u32_u24_sdwa v14, v16, v15 dst_sel:DWORD dst_unused:UNUSED_PAD src0_sel:BYTE_0 src1_sel:DWORD
	v_mov_b32_e32 v15, 0x960
	v_lshlrev_b32_e32 v14, 3, v14
	v_mul_u32_u24_sdwa v6, v6, v15 dst_sel:DWORD dst_unused:UNUSED_PAD src0_sel:WORD_0 src1_sel:DWORD
	v_add_nc_u32_e32 v15, 0x900, v29
	s_clause 0x4
	global_load_dwordx4 v[42:45], v14, s[8:9] offset:400
	global_load_dwordx4 v[46:49], v14, s[8:9] offset:416
	;; [unrolled: 1-line block ×4, first 2 shown]
	global_load_dwordx2 v[58:59], v14, s[8:9] offset:464
	ds_read2_b32 v[60:61], v30 offset0:40 offset1:220
	ds_read_b32 v39, v17
	ds_read_b32 v14, v29
	ds_read2_b32 v[62:63], v23 offset0:16 offset1:196
	ds_read2_b32 v[22:23], v22 offset0:56 offset1:236
	;; [unrolled: 1-line block ×3, first 2 shown]
	v_mov_b32_e32 v30, 2
	s_waitcnt vmcnt(0) lgkmcnt(0)
	s_barrier
	buffer_gl0_inv
	v_lshlrev_b32_sdwa v30, v30, v16 dst_sel:DWORD dst_unused:UNUSED_PAD src0_sel:DWORD src1_sel:BYTE_0
	v_add_nc_u32_e32 v16, 0xf00, v29
	v_add3_u32 v31, 0, v6, v30
	v_add_nc_u32_e32 v30, 0x1500, v29
	v_add_nc_u32_e32 v32, 0x200, v31
	;; [unrolled: 1-line block ×4, first 2 shown]
	v_mul_f32_e32 v35, v13, v43
	v_mul_f32_e32 v24, v60, v45
	v_mul_f32_e32 v6, v39, v43
	v_mul_f32_e32 v43, v61, v47
	v_mul_f32_e32 v36, v9, v45
	v_mul_f32_e32 v37, v10, v47
	v_mul_f32_e32 v47, v62, v49
	v_mul_f32_e32 v40, v7, v49
	v_mul_f32_e32 v49, v63, v51
	v_mul_f32_e32 v38, v8, v51
	v_mul_f32_e32 v51, v22, v53
	v_fmac_f32_e32 v35, v39, v42
	v_fma_f32 v45, v9, v44, -v24
	v_mul_f32_e32 v39, v5, v55
	v_mul_f32_e32 v9, v64, v57
	v_fma_f32 v13, v13, v42, -v6
	v_mul_f32_e32 v41, v4, v53
	v_mul_f32_e32 v6, v23, v55
	;; [unrolled: 1-line block ×3, first 2 shown]
	v_fma_f32 v53, v10, v46, -v43
	v_mul_f32_e32 v10, v3, v59
	v_fmac_f32_e32 v36, v60, v44
	v_fma_f32 v43, v7, v48, -v47
	v_fma_f32 v7, v8, v50, -v49
	v_fmac_f32_e32 v38, v63, v50
	v_fma_f32 v44, v4, v52, -v51
	v_fmac_f32_e32 v39, v23, v54
	v_fma_f32 v50, v2, v56, -v9
	v_mul_f32_e32 v42, v2, v57
	v_fmac_f32_e32 v37, v61, v46
	v_fma_f32 v4, v5, v54, -v6
	v_fma_f32 v2, v3, v58, -v24
	v_fmac_f32_e32 v10, v65, v58
	v_fmac_f32_e32 v41, v22, v52
	v_sub_f32_e32 v9, v45, v43
	v_sub_f32_e32 v22, v50, v44
	;; [unrolled: 1-line block ×4, first 2 shown]
	v_add_f32_e32 v58, v38, v39
	v_fmac_f32_e32 v40, v62, v48
	v_add_f32_e32 v3, v12, v45
	v_add_f32_e32 v5, v43, v44
	;; [unrolled: 1-line block ×7, first 2 shown]
	v_fmac_f32_e32 v42, v64, v56
	v_sub_f32_e32 v49, v53, v7
	v_sub_f32_e32 v56, v7, v53
	;; [unrolled: 1-line block ×3, first 2 shown]
	v_add_f32_e32 v9, v9, v22
	v_add_f32_e32 v22, v24, v46
	v_fma_f32 v46, -0.5, v58, v35
	v_sub_f32_e32 v55, v38, v39
	v_sub_f32_e32 v51, v2, v4
	v_sub_f32_e32 v59, v7, v4
	v_fma_f32 v5, -0.5, v5, v12
	v_fmac_f32_e32 v12, -0.5, v23
	v_add_f32_e32 v23, v3, v43
	v_add_f32_e32 v7, v47, v7
	v_fma_f32 v3, -0.5, v48, v13
	v_fmac_f32_e32 v13, -0.5, v52
	v_fma_f32 v47, -0.5, v62, v35
	v_sub_f32_e32 v54, v37, v10
	v_sub_f32_e32 v57, v4, v2
	;; [unrolled: 1-line block ×4, first 2 shown]
	v_fmamk_f32 v48, v53, 0xbf737871, v46
	v_sub_f32_e32 v63, v38, v37
	v_sub_f32_e32 v64, v39, v10
	v_add_f32_e32 v24, v49, v51
	v_fmamk_f32 v51, v55, 0xbf737871, v13
	v_fmac_f32_e32 v13, 0x3f737871, v55
	v_fmamk_f32 v49, v59, 0x3f737871, v47
	v_sub_f32_e32 v6, v36, v42
	v_fmamk_f32 v52, v54, 0x3f737871, v3
	v_fmac_f32_e32 v3, 0xbf737871, v54
	v_add_f32_e32 v56, v56, v57
	v_add_f32_e32 v57, v60, v61
	v_fmac_f32_e32 v48, 0xbf167918, v59
	v_sub_f32_e32 v8, v40, v41
	v_add_f32_e32 v58, v63, v64
	v_fmac_f32_e32 v47, 0xbf737871, v59
	v_fmac_f32_e32 v13, 0xbf167918, v54
	v_fmac_f32_e32 v49, 0xbf167918, v53
	v_fmamk_f32 v60, v6, 0x3f737871, v5
	v_fmac_f32_e32 v5, 0xbf737871, v6
	v_fmac_f32_e32 v46, 0x3f737871, v53
	;; [unrolled: 1-line block ×3, first 2 shown]
	v_add_f32_e32 v4, v7, v4
	v_fmac_f32_e32 v52, 0x3f167918, v55
	v_fmac_f32_e32 v48, 0x3e9e377a, v57
	v_fmamk_f32 v61, v8, 0xbf737871, v12
	v_fmac_f32_e32 v12, 0x3f737871, v8
	v_fmac_f32_e32 v51, 0x3f167918, v54
	;; [unrolled: 1-line block ×9, first 2 shown]
	v_add_f32_e32 v23, v23, v44
	v_add_f32_e32 v2, v4, v2
	v_fmac_f32_e32 v52, 0x3e9e377a, v24
	v_mul_f32_e32 v4, 0x3f167918, v48
	v_fmac_f32_e32 v61, 0x3f167918, v6
	v_fmac_f32_e32 v12, 0xbf167918, v6
	;; [unrolled: 1-line block ×4, first 2 shown]
	v_mul_f32_e32 v6, 0x3f737871, v49
	v_mul_f32_e32 v8, 0x3e9e377a, v13
	v_fmac_f32_e32 v60, 0x3e9e377a, v9
	v_fmac_f32_e32 v5, 0x3e9e377a, v9
	;; [unrolled: 1-line block ×3, first 2 shown]
	v_mul_f32_e32 v9, 0x3f4f1bbd, v3
	v_add_f32_e32 v7, v23, v50
	v_fmac_f32_e32 v4, 0x3f4f1bbd, v52
	v_fmac_f32_e32 v61, 0x3e9e377a, v22
	;; [unrolled: 1-line block ×4, first 2 shown]
	v_fma_f32 v8, 0x3f737871, v47, -v8
	v_fma_f32 v9, 0x3f167918, v46, -v9
	v_add_f32_e32 v22, v7, v2
	v_add_f32_e32 v23, v60, v4
	;; [unrolled: 1-line block ×4, first 2 shown]
	v_sub_f32_e32 v7, v7, v2
	v_add_f32_e32 v54, v5, v9
	v_sub_f32_e32 v4, v60, v4
	v_sub_f32_e32 v6, v61, v6
	;; [unrolled: 1-line block ×4, first 2 shown]
	ds_write2_b32 v31, v22, v23 offset1:60
	ds_write2_b32 v31, v24, v53 offset0:120 offset1:180
	ds_write2_b32 v32, v54, v7 offset0:112 offset1:172
	;; [unrolled: 1-line block ×4, first 2 shown]
	s_waitcnt lgkmcnt(0)
	s_barrier
	buffer_gl0_inv
	ds_read2_b32 v[4:5], v15 offset0:24 offset1:204
	ds_read2_b32 v[6:7], v16 offset1:240
	ds_read2_b32 v[8:9], v30 offset0:36 offset1:216
	ds_read_b32 v23, v17
	ds_read_b32 v22, v29
	ds_read_b32 v24, v11 offset:1440
	s_and_saveexec_b32 s1, s0
	s_cbranch_execz .LBB0_23
; %bb.22:
	ds_read_b32 v2, v11 offset:2160
	ds_read_b32 v19, v29 offset:4560
	;; [unrolled: 1-line block ×3, first 2 shown]
.LBB0_23:
	s_or_b32 exec_lo, exec_lo, s1
	v_add_f32_e32 v53, v40, v41
	v_add_f32_e32 v54, v36, v42
	;; [unrolled: 1-line block ×3, first 2 shown]
	v_sub_f32_e32 v43, v43, v44
	v_sub_f32_e32 v45, v45, v50
	v_fma_f32 v53, -0.5, v53, v14
	v_fmac_f32_e32 v14, -0.5, v54
	v_sub_f32_e32 v50, v36, v40
	v_add_f32_e32 v12, v12, v40
	v_sub_f32_e32 v36, v40, v36
	v_sub_f32_e32 v40, v41, v42
	v_fmamk_f32 v54, v43, 0x3f737871, v14
	v_fmac_f32_e32 v14, 0xbf737871, v43
	v_add_f32_e32 v35, v35, v37
	v_sub_f32_e32 v55, v42, v41
	v_fmamk_f32 v44, v45, 0xbf737871, v53
	v_fmac_f32_e32 v54, 0xbf167918, v45
	v_add_f32_e32 v36, v36, v40
	v_fmac_f32_e32 v14, 0x3f167918, v45
	v_add_f32_e32 v35, v35, v38
	;; [unrolled: 2-line block ×3, first 2 shown]
	v_add_f32_e32 v50, v50, v55
	v_fmac_f32_e32 v44, 0xbf167918, v43
	v_fmac_f32_e32 v54, 0x3e9e377a, v36
	;; [unrolled: 1-line block ×3, first 2 shown]
	v_add_f32_e32 v35, v35, v39
	v_mul_f32_e32 v36, 0xbf167918, v52
	v_mul_f32_e32 v37, 0xbf737871, v51
	;; [unrolled: 1-line block ×3, first 2 shown]
	v_fmac_f32_e32 v53, 0x3f167918, v43
	v_mul_f32_e32 v39, 0x3f4f1bbd, v46
	v_add_f32_e32 v12, v12, v42
	v_fmac_f32_e32 v44, 0x3e9e377a, v50
	v_add_f32_e32 v10, v35, v10
	v_fmac_f32_e32 v36, 0x3f4f1bbd, v48
	v_fmac_f32_e32 v37, 0x3e9e377a, v49
	v_fma_f32 v13, 0xbf737871, v13, -v38
	v_fmac_f32_e32 v53, 0x3e9e377a, v50
	v_fma_f32 v3, 0xbf167918, v3, -v39
	v_add_f32_e32 v35, v12, v10
	v_add_f32_e32 v38, v44, v36
	;; [unrolled: 1-line block ×5, first 2 shown]
	v_sub_f32_e32 v10, v12, v10
	v_sub_f32_e32 v12, v44, v36
	;; [unrolled: 1-line block ×5, first 2 shown]
	s_waitcnt lgkmcnt(0)
	s_barrier
	buffer_gl0_inv
	ds_write2_b32 v31, v35, v38 offset1:60
	ds_write2_b32 v31, v39, v40 offset0:120 offset1:180
	ds_write2_b32 v32, v41, v10 offset0:112 offset1:172
	;; [unrolled: 1-line block ×4, first 2 shown]
	s_waitcnt lgkmcnt(0)
	s_barrier
	buffer_gl0_inv
	ds_read2_b32 v[12:13], v15 offset0:24 offset1:204
	ds_read2_b32 v[14:15], v16 offset1:240
	ds_read_b32 v31, v17
	ds_read2_b32 v[16:17], v30 offset0:36 offset1:216
	ds_read_b32 v30, v29
	ds_read_b32 v32, v11 offset:1440
	s_and_saveexec_b32 s1, s0
	s_cbranch_execz .LBB0_25
; %bb.24:
	ds_read_b32 v3, v11 offset:2160
	ds_read_b32 v21, v29 offset:4560
	;; [unrolled: 1-line block ×3, first 2 shown]
.LBB0_25:
	s_or_b32 exec_lo, exec_lo, s1
	s_and_saveexec_b32 s1, vcc_lo
	s_cbranch_execz .LBB0_28
; %bb.26:
	v_lshlrev_b32_e32 v10, 1, v27
	v_mov_b32_e32 v11, 0
	v_add_nc_u32_e32 v58, 0x258, v25
	v_add_nc_u32_e32 v59, 0x4b0, v25
	v_mad_u64_u32 v[45:46], null, s2, v26, 0
	v_lshlrev_b64 v[33:34], 3, v[10:11]
	v_lshlrev_b32_e32 v10, 1, v28
	v_add_nc_u32_e32 v60, 0x30c, v25
	v_add_nc_u32_e32 v61, 0x564, v25
	v_mul_hi_u32 v55, 0x1b4e81b5, v27
	v_mad_u64_u32 v[47:48], null, s2, v58, 0
	v_add_co_u32 v29, vcc_lo, s8, v33
	v_add_co_ci_u32_e32 v33, vcc_lo, s9, v34, vcc_lo
	v_lshlrev_b64 v[37:38], 3, v[10:11]
	v_add_co_u32 v28, vcc_lo, 0x1000, v29
	v_add_co_ci_u32_e32 v29, vcc_lo, 0, v33, vcc_lo
	v_lshlrev_b32_e32 v10, 1, v25
	v_mad_u64_u32 v[49:50], null, s2, v59, 0
	global_load_dwordx4 v[33:36], v[28:29], off offset:624
	v_add_co_u32 v28, vcc_lo, s8, v37
	v_add_co_ci_u32_e32 v29, vcc_lo, s9, v38, vcc_lo
	v_lshlrev_b64 v[41:42], 3, v[10:11]
	v_add_co_u32 v28, vcc_lo, 0x1000, v28
	v_add_co_ci_u32_e32 v29, vcc_lo, 0, v29, vcc_lo
	v_mad_u64_u32 v[51:52], null, s2, v60, 0
	v_add_co_u32 v10, vcc_lo, s8, v41
	global_load_dwordx4 v[37:40], v[28:29], off offset:624
	v_add_co_ci_u32_e32 v29, vcc_lo, s9, v42, vcc_lo
	v_add_co_u32 v28, vcc_lo, 0x1000, v10
	v_mad_u64_u32 v[53:54], null, s2, v61, 0
	v_add_co_ci_u32_e32 v29, vcc_lo, 0, v29, vcc_lo
	v_lshrrev_b32_e32 v62, 6, v55
	v_add_co_u32 v0, vcc_lo, s12, v0
	global_load_dwordx4 v[41:44], v[28:29], off offset:624
	v_mad_u64_u32 v[28:29], null, s2, v25, 0
	v_mad_u32_u24 v64, 0x4b0, v62, v27
	v_add_co_ci_u32_e32 v1, vcc_lo, s13, v1, vcc_lo
	v_add_nc_u32_e32 v65, 0x258, v64
	v_mov_b32_e32 v10, v29
	v_mov_b32_e32 v29, v46
	;; [unrolled: 1-line block ×3, first 2 shown]
	v_add_nc_u32_e32 v66, 0x4b0, v64
	v_mad_u64_u32 v[55:56], null, s3, v25, v[10:11]
	v_mov_b32_e32 v10, v48
	s_waitcnt lgkmcnt(1)
	v_mad_u64_u32 v[56:57], null, s3, v26, v[29:30]
	v_mov_b32_e32 v26, v52
	v_mov_b32_e32 v29, v54
	v_mad_u64_u32 v[57:58], null, s3, v58, v[10:11]
	v_mad_u64_u32 v[58:59], null, s3, v59, v[46:47]
	v_mad_u64_u32 v[26:27], null, s3, v60, v[26:27]
	v_mad_u64_u32 v[59:60], null, s3, v61, v[29:30]
	v_mad_u64_u32 v[60:61], null, s2, v64, 0
	v_mov_b32_e32 v29, v55
	v_mov_b32_e32 v46, v56
	v_mad_u64_u32 v[55:56], null, s2, v65, 0
	v_mad_u64_u32 v[62:63], null, s2, v66, 0
	v_lshlrev_b64 v[27:28], 3, v[28:29]
	v_mov_b32_e32 v10, v61
	v_mov_b32_e32 v48, v57
	;; [unrolled: 1-line block ×5, first 2 shown]
	v_mad_u64_u32 v[57:58], null, s3, v64, v[10:11]
	v_mov_b32_e32 v10, v56
	v_mov_b32_e32 v26, v63
	v_add_co_u32 v27, vcc_lo, v0, v27
	v_lshlrev_b64 v[45:46], 3, v[45:46]
	v_mad_u64_u32 v[58:59], null, s3, v65, v[10:11]
	v_mad_u64_u32 v[63:64], null, s3, v66, v[26:27]
	v_mov_b32_e32 v61, v57
	v_lshlrev_b64 v[47:48], 3, v[47:48]
	v_add_co_ci_u32_e32 v28, vcc_lo, v1, v28, vcc_lo
	v_mov_b32_e32 v56, v58
	v_lshlrev_b64 v[59:60], 3, v[60:61]
	v_lshlrev_b64 v[57:58], 3, v[62:63]
	;; [unrolled: 1-line block ×3, first 2 shown]
	v_add_co_u32 v45, vcc_lo, v0, v45
	v_add_co_ci_u32_e32 v46, vcc_lo, v1, v46, vcc_lo
	v_lshlrev_b64 v[51:52], 3, v[51:52]
	v_add_co_u32 v47, vcc_lo, v0, v47
	v_add_co_ci_u32_e32 v48, vcc_lo, v1, v48, vcc_lo
	v_lshlrev_b64 v[53:54], 3, v[53:54]
	v_add_co_u32 v49, vcc_lo, v0, v49
	v_add_co_ci_u32_e32 v50, vcc_lo, v1, v50, vcc_lo
	v_add_co_u32 v51, vcc_lo, v0, v51
	v_add_co_ci_u32_e32 v52, vcc_lo, v1, v52, vcc_lo
	v_add_co_u32 v53, vcc_lo, v0, v53
	v_lshlrev_b64 v[55:56], 3, v[55:56]
	v_add_co_ci_u32_e32 v54, vcc_lo, v1, v54, vcc_lo
	v_add_co_u32 v59, vcc_lo, v0, v59
	v_add_co_ci_u32_e32 v60, vcc_lo, v1, v60, vcc_lo
	v_add_co_u32 v55, vcc_lo, v0, v55
	;; [unrolled: 2-line block ×3, first 2 shown]
	v_add_co_ci_u32_e32 v58, vcc_lo, v1, v58, vcc_lo
	s_waitcnt vmcnt(2)
	v_mul_f32_e32 v10, v14, v34
	v_mul_f32_e32 v26, v17, v36
	;; [unrolled: 1-line block ×4, first 2 shown]
	v_fma_f32 v6, v6, v33, -v10
	v_fma_f32 v10, v9, v35, -v26
	v_fmac_f32_e32 v29, v14, v33
	v_fmac_f32_e32 v34, v17, v35
	v_sub_f32_e32 v33, v6, v10
	s_waitcnt lgkmcnt(0)
	v_add_f32_e32 v36, v32, v29
	v_add_f32_e32 v35, v29, v34
	s_waitcnt vmcnt(1)
	v_mul_f32_e32 v9, v13, v38
	v_mul_f32_e32 v14, v16, v40
	;; [unrolled: 1-line block ×4, first 2 shown]
	v_add_f32_e32 v38, v6, v10
	v_fma_f32 v61, v5, v37, -v9
	v_fma_f32 v62, v8, v39, -v14
	v_fmac_f32_e32 v17, v13, v37
	v_fmac_f32_e32 v26, v16, v39
	v_sub_f32_e32 v29, v29, v34
	v_add_f32_e32 v40, v24, v6
	v_fma_f32 v6, -0.5, v35, v32
	s_waitcnt vmcnt(0)
	v_mul_f32_e32 v13, v12, v42
	v_mul_f32_e32 v14, v15, v44
	;; [unrolled: 1-line block ×4, first 2 shown]
	v_fma_f32 v5, -0.5, v38, v24
	v_add_f32_e32 v32, v61, v62
	v_fma_f32 v4, v4, v41, -v13
	v_fma_f32 v7, v7, v43, -v14
	v_fmac_f32_e32 v37, v12, v41
	v_fmac_f32_e32 v39, v15, v43
	v_add_f32_e32 v24, v31, v17
	v_add_f32_e32 v9, v36, v34
	;; [unrolled: 1-line block ×3, first 2 shown]
	v_fmamk_f32 v12, v29, 0xbf5db3d7, v5
	v_fmac_f32_e32 v5, 0x3f5db3d7, v29
	v_fma_f32 v14, -0.5, v32, v23
	v_add_f32_e32 v23, v37, v39
	v_add_f32_e32 v29, v4, v7
	;; [unrolled: 1-line block ×3, first 2 shown]
	v_sub_f32_e32 v35, v17, v26
	v_add_f32_e32 v17, v24, v26
	v_sub_f32_e32 v24, v4, v7
	v_add_f32_e32 v26, v30, v37
	v_add_f32_e32 v4, v22, v4
	v_sub_f32_e32 v36, v37, v39
	v_fma_f32 v23, -0.5, v23, v30
	v_fma_f32 v22, -0.5, v29, v22
	v_add_f32_e32 v8, v40, v10
	v_sub_f32_e32 v10, v61, v62
	v_fma_f32 v15, -0.5, v16, v31
	v_add_f32_e32 v32, v26, v39
	v_add_f32_e32 v31, v4, v7
	v_fmamk_f32 v13, v33, 0x3f5db3d7, v6
	v_fmac_f32_e32 v6, 0xbf5db3d7, v33
	v_add_f32_e32 v16, v34, v62
	v_fmamk_f32 v34, v24, 0x3f5db3d7, v23
	v_fmac_f32_e32 v23, 0xbf5db3d7, v24
	v_fmamk_f32 v33, v36, 0xbf5db3d7, v22
	v_fmac_f32_e32 v22, 0x3f5db3d7, v36
	;; [unrolled: 2-line block ×4, first 2 shown]
	global_store_dwordx2 v[27:28], v[31:32], off
	global_store_dwordx2 v[47:48], v[22:23], off
	global_store_dwordx2 v[49:50], v[33:34], off
	global_store_dwordx2 v[45:46], v[16:17], off
	global_store_dwordx2 v[51:52], v[14:15], off
	global_store_dwordx2 v[53:54], v[29:30], off
	global_store_dwordx2 v[59:60], v[8:9], off
	global_store_dwordx2 v[55:56], v[5:6], off
	global_store_dwordx2 v[57:58], v[12:13], off
	s_and_b32 exec_lo, exec_lo, s0
	s_cbranch_execz .LBB0_28
; %bb.27:
	v_add_nc_u32_e32 v14, 0x21c, v25
	v_subrev_nc_u32_e32 v4, 60, v25
	v_add_nc_u32_e32 v16, 0x474, v25
	v_add_nc_u32_e32 v17, 0x6cc, v25
	v_mad_u64_u32 v[8:9], null, s2, v14, 0
	v_cndmask_b32_e64 v4, v4, v14, s0
	v_mad_u64_u32 v[12:13], null, s2, v17, 0
	v_lshlrev_b32_e32 v10, 1, v4
	v_lshlrev_b64 v[4:5], 3, v[10:11]
	v_mad_u64_u32 v[10:11], null, s2, v16, 0
	v_add_co_u32 v4, vcc_lo, s8, v4
	v_add_co_ci_u32_e32 v5, vcc_lo, s9, v5, vcc_lo
	v_mad_u64_u32 v[14:15], null, s3, v14, v[9:10]
	v_add_co_u32 v4, vcc_lo, 0x1000, v4
	v_add_co_ci_u32_e32 v5, vcc_lo, 0, v5, vcc_lo
	v_mad_u64_u32 v[15:16], null, s3, v16, v[11:12]
	v_mad_u64_u32 v[16:17], null, s3, v17, v[13:14]
	global_load_dwordx4 v[4:7], v[4:5], off offset:624
	v_mov_b32_e32 v9, v14
	v_mov_b32_e32 v11, v15
	v_lshlrev_b64 v[8:9], 3, v[8:9]
	v_mov_b32_e32 v13, v16
	v_lshlrev_b64 v[10:11], 3, v[10:11]
	v_lshlrev_b64 v[12:13], 3, v[12:13]
	v_add_co_u32 v8, vcc_lo, v0, v8
	v_add_co_ci_u32_e32 v9, vcc_lo, v1, v9, vcc_lo
	v_add_co_u32 v10, vcc_lo, v0, v10
	v_add_co_ci_u32_e32 v11, vcc_lo, v1, v11, vcc_lo
	;; [unrolled: 2-line block ×3, first 2 shown]
	s_waitcnt vmcnt(0)
	v_mul_f32_e32 v14, v21, v5
	v_mul_f32_e32 v5, v19, v5
	;; [unrolled: 1-line block ×4, first 2 shown]
	v_fma_f32 v14, v19, v4, -v14
	v_fmac_f32_e32 v5, v21, v4
	v_fma_f32 v4, v18, v6, -v15
	v_fmac_f32_e32 v7, v20, v6
	v_add_f32_e32 v12, v2, v14
	v_add_f32_e32 v6, v14, v4
	;; [unrolled: 1-line block ×3, first 2 shown]
	v_sub_f32_e32 v15, v5, v7
	v_add_f32_e32 v5, v3, v5
	v_sub_f32_e32 v14, v14, v4
	v_fmac_f32_e32 v2, -0.5, v6
	v_fmac_f32_e32 v3, -0.5, v13
	v_add_f32_e32 v4, v12, v4
	v_add_f32_e32 v5, v5, v7
	v_fmamk_f32 v6, v15, 0x3f5db3d7, v2
	v_fmamk_f32 v7, v14, 0xbf5db3d7, v3
	v_fmac_f32_e32 v2, 0xbf5db3d7, v15
	v_fmac_f32_e32 v3, 0x3f5db3d7, v14
	global_store_dwordx2 v[8:9], v[4:5], off
	global_store_dwordx2 v[10:11], v[6:7], off
	;; [unrolled: 1-line block ×3, first 2 shown]
.LBB0_28:
	s_endpgm
	.section	.rodata,"a",@progbits
	.p2align	6, 0x0
	.amdhsa_kernel fft_rtc_fwd_len1800_factors_10_6_10_3_wgs_180_tpt_180_halfLds_sp_ip_CI_sbrr_dirReg
		.amdhsa_group_segment_fixed_size 0
		.amdhsa_private_segment_fixed_size 0
		.amdhsa_kernarg_size 88
		.amdhsa_user_sgpr_count 6
		.amdhsa_user_sgpr_private_segment_buffer 1
		.amdhsa_user_sgpr_dispatch_ptr 0
		.amdhsa_user_sgpr_queue_ptr 0
		.amdhsa_user_sgpr_kernarg_segment_ptr 1
		.amdhsa_user_sgpr_dispatch_id 0
		.amdhsa_user_sgpr_flat_scratch_init 0
		.amdhsa_user_sgpr_private_segment_size 0
		.amdhsa_wavefront_size32 1
		.amdhsa_uses_dynamic_stack 0
		.amdhsa_system_sgpr_private_segment_wavefront_offset 0
		.amdhsa_system_sgpr_workgroup_id_x 1
		.amdhsa_system_sgpr_workgroup_id_y 0
		.amdhsa_system_sgpr_workgroup_id_z 0
		.amdhsa_system_sgpr_workgroup_info 0
		.amdhsa_system_vgpr_workitem_id 0
		.amdhsa_next_free_vgpr 67
		.amdhsa_next_free_sgpr 23
		.amdhsa_reserve_vcc 1
		.amdhsa_reserve_flat_scratch 0
		.amdhsa_float_round_mode_32 0
		.amdhsa_float_round_mode_16_64 0
		.amdhsa_float_denorm_mode_32 3
		.amdhsa_float_denorm_mode_16_64 3
		.amdhsa_dx10_clamp 1
		.amdhsa_ieee_mode 1
		.amdhsa_fp16_overflow 0
		.amdhsa_workgroup_processor_mode 1
		.amdhsa_memory_ordered 1
		.amdhsa_forward_progress 0
		.amdhsa_shared_vgpr_count 0
		.amdhsa_exception_fp_ieee_invalid_op 0
		.amdhsa_exception_fp_denorm_src 0
		.amdhsa_exception_fp_ieee_div_zero 0
		.amdhsa_exception_fp_ieee_overflow 0
		.amdhsa_exception_fp_ieee_underflow 0
		.amdhsa_exception_fp_ieee_inexact 0
		.amdhsa_exception_int_div_zero 0
	.end_amdhsa_kernel
	.text
.Lfunc_end0:
	.size	fft_rtc_fwd_len1800_factors_10_6_10_3_wgs_180_tpt_180_halfLds_sp_ip_CI_sbrr_dirReg, .Lfunc_end0-fft_rtc_fwd_len1800_factors_10_6_10_3_wgs_180_tpt_180_halfLds_sp_ip_CI_sbrr_dirReg
                                        ; -- End function
	.section	.AMDGPU.csdata,"",@progbits
; Kernel info:
; codeLenInByte = 7384
; NumSgprs: 25
; NumVgprs: 67
; ScratchSize: 0
; MemoryBound: 0
; FloatMode: 240
; IeeeMode: 1
; LDSByteSize: 0 bytes/workgroup (compile time only)
; SGPRBlocks: 3
; VGPRBlocks: 8
; NumSGPRsForWavesPerEU: 25
; NumVGPRsForWavesPerEU: 67
; Occupancy: 12
; WaveLimiterHint : 1
; COMPUTE_PGM_RSRC2:SCRATCH_EN: 0
; COMPUTE_PGM_RSRC2:USER_SGPR: 6
; COMPUTE_PGM_RSRC2:TRAP_HANDLER: 0
; COMPUTE_PGM_RSRC2:TGID_X_EN: 1
; COMPUTE_PGM_RSRC2:TGID_Y_EN: 0
; COMPUTE_PGM_RSRC2:TGID_Z_EN: 0
; COMPUTE_PGM_RSRC2:TIDIG_COMP_CNT: 0
	.text
	.p2alignl 6, 3214868480
	.fill 48, 4, 3214868480
	.type	__hip_cuid_cde07d0d42333b64,@object ; @__hip_cuid_cde07d0d42333b64
	.section	.bss,"aw",@nobits
	.globl	__hip_cuid_cde07d0d42333b64
__hip_cuid_cde07d0d42333b64:
	.byte	0                               ; 0x0
	.size	__hip_cuid_cde07d0d42333b64, 1

	.ident	"AMD clang version 19.0.0git (https://github.com/RadeonOpenCompute/llvm-project roc-6.4.0 25133 c7fe45cf4b819c5991fe208aaa96edf142730f1d)"
	.section	".note.GNU-stack","",@progbits
	.addrsig
	.addrsig_sym __hip_cuid_cde07d0d42333b64
	.amdgpu_metadata
---
amdhsa.kernels:
  - .args:
      - .actual_access:  read_only
        .address_space:  global
        .offset:         0
        .size:           8
        .value_kind:     global_buffer
      - .offset:         8
        .size:           8
        .value_kind:     by_value
      - .actual_access:  read_only
        .address_space:  global
        .offset:         16
        .size:           8
        .value_kind:     global_buffer
      - .actual_access:  read_only
        .address_space:  global
        .offset:         24
        .size:           8
        .value_kind:     global_buffer
      - .offset:         32
        .size:           8
        .value_kind:     by_value
      - .actual_access:  read_only
        .address_space:  global
        .offset:         40
        .size:           8
        .value_kind:     global_buffer
      - .actual_access:  read_only
        .address_space:  global
        .offset:         48
        .size:           8
        .value_kind:     global_buffer
      - .offset:         56
        .size:           4
        .value_kind:     by_value
      - .actual_access:  read_only
        .address_space:  global
        .offset:         64
        .size:           8
        .value_kind:     global_buffer
      - .actual_access:  read_only
        .address_space:  global
        .offset:         72
        .size:           8
        .value_kind:     global_buffer
      - .address_space:  global
        .offset:         80
        .size:           8
        .value_kind:     global_buffer
    .group_segment_fixed_size: 0
    .kernarg_segment_align: 8
    .kernarg_segment_size: 88
    .language:       OpenCL C
    .language_version:
      - 2
      - 0
    .max_flat_workgroup_size: 180
    .name:           fft_rtc_fwd_len1800_factors_10_6_10_3_wgs_180_tpt_180_halfLds_sp_ip_CI_sbrr_dirReg
    .private_segment_fixed_size: 0
    .sgpr_count:     25
    .sgpr_spill_count: 0
    .symbol:         fft_rtc_fwd_len1800_factors_10_6_10_3_wgs_180_tpt_180_halfLds_sp_ip_CI_sbrr_dirReg.kd
    .uniform_work_group_size: 1
    .uses_dynamic_stack: false
    .vgpr_count:     67
    .vgpr_spill_count: 0
    .wavefront_size: 32
    .workgroup_processor_mode: 1
amdhsa.target:   amdgcn-amd-amdhsa--gfx1030
amdhsa.version:
  - 1
  - 2
...

	.end_amdgpu_metadata
